;; amdgpu-corpus repo=zjin-lcf/HeCBench kind=compiled arch=gfx1100 opt=O3
	.text
	.amdgcn_target "amdgcn-amd-amdhsa--gfx1100"
	.amdhsa_code_object_version 6
	.protected	_Z11sortElementP15HIP_vector_typeIfLj4EES1_i ; -- Begin function _Z11sortElementP15HIP_vector_typeIfLj4EES1_i
	.globl	_Z11sortElementP15HIP_vector_typeIfLj4EES1_i
	.p2align	8
	.type	_Z11sortElementP15HIP_vector_typeIfLj4EES1_i,@function
_Z11sortElementP15HIP_vector_typeIfLj4EES1_i: ; @_Z11sortElementP15HIP_vector_typeIfLj4EES1_i
; %bb.0:
	s_clause 0x1
	s_load_b32 s2, s[0:1], 0x24
	s_load_b32 s3, s[0:1], 0x10
	s_waitcnt lgkmcnt(0)
	s_and_b32 s2, s2, 0xffff
	s_delay_alu instid0(SALU_CYCLE_1) | instskip(SKIP_1) | instid1(VALU_DEP_1)
	v_mad_u64_u32 v[1:2], null, s15, s2, v[0:1]
	s_mov_b32 s2, exec_lo
	v_cmpx_gt_i32_e64 s3, v1
	s_cbranch_execz .LBB0_2
; %bb.1:
	s_load_b128 s[0:3], s[0:1], 0x0
	v_ashrrev_i32_e32 v2, 31, v1
	s_delay_alu instid0(VALU_DEP_1) | instskip(SKIP_1) | instid1(VALU_DEP_1)
	v_lshlrev_b64 v[4:5], 4, v[1:2]
	s_waitcnt lgkmcnt(0)
	v_add_co_u32 v0, vcc_lo, s2, v4
	s_delay_alu instid0(VALU_DEP_2)
	v_add_co_ci_u32_e32 v1, vcc_lo, s3, v5, vcc_lo
	global_load_b128 v[0:3], v[0:1], off
	s_waitcnt vmcnt(0)
	v_cmp_gt_f32_e32 vcc_lo, v0, v1
	v_cndmask_b32_e32 v6, v0, v1, vcc_lo
	v_cmp_gt_f32_e32 vcc_lo, v1, v0
	v_cndmask_b32_e32 v1, v0, v1, vcc_lo
	;; [unrolled: 2-line block ×4, first 2 shown]
	s_delay_alu instid0(VALU_DEP_3) | instskip(SKIP_1) | instid1(VALU_DEP_3)
	v_cmp_gt_f32_e32 vcc_lo, v1, v7
	v_cndmask_b32_e32 v2, v1, v7, vcc_lo
	v_cmp_gt_f32_e32 vcc_lo, v0, v6
	v_cndmask_b32_e32 v8, v6, v0, vcc_lo
	;; [unrolled: 2-line block ×6, first 2 shown]
	v_add_co_u32 v4, vcc_lo, s0, v4
	v_add_co_ci_u32_e32 v5, vcc_lo, s1, v5, vcc_lo
	global_store_b128 v[4:5], v[0:3], off
.LBB0_2:
	s_nop 0
	s_sendmsg sendmsg(MSG_DEALLOC_VGPRS)
	s_endpgm
	.section	.rodata,"a",@progbits
	.p2align	6, 0x0
	.amdhsa_kernel _Z11sortElementP15HIP_vector_typeIfLj4EES1_i
		.amdhsa_group_segment_fixed_size 0
		.amdhsa_private_segment_fixed_size 0
		.amdhsa_kernarg_size 280
		.amdhsa_user_sgpr_count 15
		.amdhsa_user_sgpr_dispatch_ptr 0
		.amdhsa_user_sgpr_queue_ptr 0
		.amdhsa_user_sgpr_kernarg_segment_ptr 1
		.amdhsa_user_sgpr_dispatch_id 0
		.amdhsa_user_sgpr_private_segment_size 0
		.amdhsa_wavefront_size32 1
		.amdhsa_uses_dynamic_stack 0
		.amdhsa_enable_private_segment 0
		.amdhsa_system_sgpr_workgroup_id_x 1
		.amdhsa_system_sgpr_workgroup_id_y 0
		.amdhsa_system_sgpr_workgroup_id_z 0
		.amdhsa_system_sgpr_workgroup_info 0
		.amdhsa_system_vgpr_workitem_id 0
		.amdhsa_next_free_vgpr 9
		.amdhsa_next_free_sgpr 16
		.amdhsa_reserve_vcc 1
		.amdhsa_float_round_mode_32 0
		.amdhsa_float_round_mode_16_64 0
		.amdhsa_float_denorm_mode_32 3
		.amdhsa_float_denorm_mode_16_64 3
		.amdhsa_dx10_clamp 1
		.amdhsa_ieee_mode 1
		.amdhsa_fp16_overflow 0
		.amdhsa_workgroup_processor_mode 1
		.amdhsa_memory_ordered 1
		.amdhsa_forward_progress 0
		.amdhsa_shared_vgpr_count 0
		.amdhsa_exception_fp_ieee_invalid_op 0
		.amdhsa_exception_fp_denorm_src 0
		.amdhsa_exception_fp_ieee_div_zero 0
		.amdhsa_exception_fp_ieee_overflow 0
		.amdhsa_exception_fp_ieee_underflow 0
		.amdhsa_exception_fp_ieee_inexact 0
		.amdhsa_exception_int_div_zero 0
	.end_amdhsa_kernel
	.text
.Lfunc_end0:
	.size	_Z11sortElementP15HIP_vector_typeIfLj4EES1_i, .Lfunc_end0-_Z11sortElementP15HIP_vector_typeIfLj4EES1_i
                                        ; -- End function
	.section	.AMDGPU.csdata,"",@progbits
; Kernel info:
; codeLenInByte = 232
; NumSgprs: 18
; NumVgprs: 9
; ScratchSize: 0
; MemoryBound: 0
; FloatMode: 240
; IeeeMode: 1
; LDSByteSize: 0 bytes/workgroup (compile time only)
; SGPRBlocks: 2
; VGPRBlocks: 1
; NumSGPRsForWavesPerEU: 18
; NumVGPRsForWavesPerEU: 9
; Occupancy: 16
; WaveLimiterHint : 0
; COMPUTE_PGM_RSRC2:SCRATCH_EN: 0
; COMPUTE_PGM_RSRC2:USER_SGPR: 15
; COMPUTE_PGM_RSRC2:TRAP_HANDLER: 0
; COMPUTE_PGM_RSRC2:TGID_X_EN: 1
; COMPUTE_PGM_RSRC2:TGID_Y_EN: 0
; COMPUTE_PGM_RSRC2:TGID_Z_EN: 0
; COMPUTE_PGM_RSRC2:TIDIG_COMP_CNT: 0
	.text
	.protected	_Z13mergeSortPassPK15HIP_vector_typeIfLj4EEPS0_PKiiii ; -- Begin function _Z13mergeSortPassPK15HIP_vector_typeIfLj4EEPS0_PKiiii
	.globl	_Z13mergeSortPassPK15HIP_vector_typeIfLj4EEPS0_PKiiii
	.p2align	8
	.type	_Z13mergeSortPassPK15HIP_vector_typeIfLj4EEPS0_PKiiii,@function
_Z13mergeSortPassPK15HIP_vector_typeIfLj4EEPS0_PKiiii: ; @_Z13mergeSortPassPK15HIP_vector_typeIfLj4EEPS0_PKiiii
; %bb.0:
	s_clause 0x1
	s_load_b128 s[4:7], s[0:1], 0x18
	s_load_b32 s2, s[0:1], 0x34
	s_waitcnt lgkmcnt(0)
	s_abs_i32 s3, s4
	s_and_b32 s2, s2, 0xffff
	v_cvt_f32_u32_e32 v1, s3
	s_sub_i32 s7, 0, s3
	s_delay_alu instid0(VALU_DEP_1) | instskip(SKIP_2) | instid1(VALU_DEP_1)
	v_rcp_iflag_f32_e32 v1, v1
	s_waitcnt_depctr 0xfff
	v_mul_f32_e32 v1, 0x4f7ffffe, v1
	v_cvt_u32_f32_e32 v3, v1
	v_mad_u64_u32 v[1:2], null, s15, s2, v[0:1]
	s_mov_b32 s2, exec_lo
	s_delay_alu instid0(VALU_DEP_2) | instskip(NEXT) | instid1(VALU_DEP_2)
	v_mul_lo_u32 v4, s7, v3
	v_sub_nc_u32_e32 v2, 0, v1
	s_delay_alu instid0(VALU_DEP_2) | instskip(NEXT) | instid1(VALU_DEP_2)
	v_mul_hi_u32 v0, v3, v4
	v_max_i32_e32 v2, v1, v2
	s_delay_alu instid0(VALU_DEP_2) | instskip(NEXT) | instid1(VALU_DEP_1)
	v_add_nc_u32_e32 v0, v3, v0
	v_mul_hi_u32 v0, v2, v0
	s_delay_alu instid0(VALU_DEP_1) | instskip(NEXT) | instid1(VALU_DEP_1)
	v_mul_lo_u32 v3, v0, s3
	v_sub_nc_u32_e32 v2, v2, v3
	v_add_nc_u32_e32 v3, 1, v0
	s_delay_alu instid0(VALU_DEP_2) | instskip(SKIP_1) | instid1(VALU_DEP_3)
	v_subrev_nc_u32_e32 v4, s3, v2
	v_cmp_le_u32_e32 vcc_lo, s3, v2
	v_cndmask_b32_e32 v0, v0, v3, vcc_lo
	s_delay_alu instid0(VALU_DEP_3) | instskip(SKIP_1) | instid1(VALU_DEP_3)
	v_cndmask_b32_e32 v2, v2, v4, vcc_lo
	v_xor_b32_e32 v3, s4, v1
	v_add_nc_u32_e32 v4, 1, v0
	s_delay_alu instid0(VALU_DEP_3) | instskip(NEXT) | instid1(VALU_DEP_3)
	v_cmp_le_u32_e32 vcc_lo, s3, v2
	v_ashrrev_i32_e32 v3, 31, v3
	s_delay_alu instid0(VALU_DEP_3) | instskip(NEXT) | instid1(VALU_DEP_1)
	v_cndmask_b32_e32 v0, v0, v4, vcc_lo
	v_xor_b32_e32 v0, v0, v3
	s_delay_alu instid0(VALU_DEP_1) | instskip(NEXT) | instid1(VALU_DEP_1)
	v_sub_nc_u32_e32 v4, v0, v3
	v_cmpx_gt_i32_e32 0x400, v4
	s_cbranch_execz .LBB1_24
; %bb.1:
	s_load_b64 s[2:3], s[0:1], 0x10
	v_ashrrev_i32_e32 v5, 31, v4
	v_mul_lo_u32 v0, v4, s4
	s_delay_alu instid0(VALU_DEP_2) | instskip(NEXT) | instid1(VALU_DEP_2)
	v_lshlrev_b64 v[2:3], 2, v[4:5]
	v_sub_nc_u32_e32 v4, v1, v0
	s_waitcnt lgkmcnt(0)
	s_delay_alu instid0(VALU_DEP_2) | instskip(NEXT) | instid1(VALU_DEP_3)
	v_add_co_u32 v20, vcc_lo, s2, v2
	v_add_co_ci_u32_e32 v21, vcc_lo, s3, v3, vcc_lo
	global_load_b64 v[2:3], v[20:21], off
	s_waitcnt vmcnt(0)
	v_mad_u64_u32 v[0:1], null, v4, s5, v[2:3]
	s_delay_alu instid0(VALU_DEP_1)
	v_cmp_lt_i32_e32 vcc_lo, v0, v3
	s_and_b32 exec_lo, exec_lo, vcc_lo
	s_cbranch_execz .LBB1_24
; %bb.2:
	s_load_b128 s[8:11], s[0:1], 0x0
	s_lshr_b32 s0, s5, 31
	v_ashrrev_i32_e32 v1, 31, v0
	s_add_i32 s0, s5, s0
	s_delay_alu instid0(SALU_CYCLE_1) | instskip(SKIP_1) | instid1(VALU_DEP_1)
	s_ashr_i32 s2, s0, 1
	s_mov_b32 s0, exec_lo
	v_lshlrev_b64 v[8:9], 4, v[0:1]
	v_add_nc_u32_e32 v10, s2, v0
	s_delay_alu instid0(VALU_DEP_1)
	v_cmpx_ge_i32_e64 v10, v3
	s_xor_b32 s1, exec_lo, s0
	s_cbranch_execz .LBB1_6
; %bb.3:
	s_waitcnt lgkmcnt(0)
	v_add_co_u32 v1, vcc_lo, s10, v8
	v_add_co_ci_u32_e32 v2, vcc_lo, s11, v9, vcc_lo
	s_mov_b32 s3, 0
	s_mov_b32 s4, 0
	.p2align	6
.LBB1_4:                                ; =>This Inner Loop Header: Depth=1
	s_delay_alu instid0(SALU_CYCLE_1) | instskip(SKIP_1) | instid1(VALU_DEP_1)
	v_add_nc_u32_e32 v3, s4, v0
	s_add_i32 s4, s4, 1
	v_ashrrev_i32_e32 v4, 31, v3
	s_delay_alu instid0(VALU_DEP_1) | instskip(NEXT) | instid1(VALU_DEP_1)
	v_lshlrev_b64 v[3:4], 4, v[3:4]
	v_add_co_u32 v3, vcc_lo, s8, v3
	s_delay_alu instid0(VALU_DEP_2)
	v_add_co_ci_u32_e32 v4, vcc_lo, s9, v4, vcc_lo
	global_load_b128 v[3:6], v[3:4], off
	s_waitcnt vmcnt(0)
	global_store_b128 v[1:2], v[3:6], off
	global_load_b32 v3, v[20:21], off offset:4
	v_add_co_u32 v1, s0, v1, 16
	s_delay_alu instid0(VALU_DEP_1) | instskip(SKIP_2) | instid1(VALU_DEP_1)
	v_add_co_ci_u32_e64 v2, s0, 0, v2, s0
	s_waitcnt vmcnt(0)
	v_sub_nc_u32_e32 v3, v3, v0
	v_cmp_ge_i32_e32 vcc_lo, s4, v3
	s_or_b32 s3, vcc_lo, s3
	s_delay_alu instid0(SALU_CYCLE_1)
	s_and_not1_b32 exec_lo, exec_lo, s3
	s_cbranch_execnz .LBB1_4
; %bb.5:
	s_or_b32 exec_lo, exec_lo, s3
                                        ; implicit-def: $vgpr20_vgpr21
                                        ; implicit-def: $vgpr8_vgpr9
                                        ; implicit-def: $vgpr10
.LBB1_6:
	s_and_not1_saveexec_b32 s0, s1
	s_cbranch_execz .LBB1_24
; %bb.7:
	s_waitcnt lgkmcnt(0)
	v_add_co_u32 v22, vcc_lo, s8, v8
	s_ashr_i32 s3, s2, 31
	v_add_co_ci_u32_e32 v23, vcc_lo, s9, v9, vcc_lo
	s_lshl_b64 s[0:1], s[2:3], 4
	v_dual_mov_b32 v30, 0 :: v_dual_add_nc_u32 v29, 1, v10
	v_add_co_u32 v0, vcc_lo, v22, s0
	s_delay_alu instid0(VALU_DEP_3)
	v_add_co_ci_u32_e32 v1, vcc_lo, s1, v23, vcc_lo
	s_clause 0x1
	global_load_b128 v[4:7], v[22:23], off
	global_load_b128 v[0:3], v[0:1], off
	v_add_co_u32 v8, vcc_lo, v8, s10
	v_add_co_ci_u32_e32 v9, vcc_lo, s11, v9, vcc_lo
	v_mov_b32_e32 v26, 0
	s_delay_alu instid0(VALU_DEP_3) | instskip(NEXT) | instid1(VALU_DEP_3)
	v_add_co_u32 v24, vcc_lo, v8, -16
	v_add_co_ci_u32_e32 v25, vcc_lo, -1, v9, vcc_lo
	s_mov_b32 s0, 0
	s_branch .LBB1_10
.LBB1_8:                                ;   in Loop: Header=BB1_10 Depth=1
	s_or_b32 exec_lo, exec_lo, s5
	s_delay_alu instid0(VALU_DEP_1) | instskip(SKIP_4) | instid1(SALU_CYCLE_1)
	v_mov_b32_e32 v26, v27
	s_waitcnt vmcnt(0)
	v_mov_b32_e32 v8, v12
	s_and_not1_b32 s1, s1, exec_lo
	s_and_b32 s4, s4, exec_lo
	s_or_b32 s1, s1, s4
.LBB1_9:                                ;   in Loop: Header=BB1_10 Depth=1
	s_or_b32 exec_lo, exec_lo, s3
	v_cmp_ge_f32_e32 vcc_lo, v7, v0
	s_xor_b32 s1, s1, -1
	s_delay_alu instid0(SALU_CYCLE_1) | instskip(NEXT) | instid1(SALU_CYCLE_1)
	s_and_b32 s1, exec_lo, s1
	s_or_b32 s0, s1, s0
	v_cndmask_b32_e32 v0, v0, v7, vcc_lo
	v_cmp_ge_f32_e32 vcc_lo, v6, v1
	v_mov_b32_e32 v7, v11
	v_cndmask_b32_e32 v1, v1, v6, vcc_lo
	v_cmp_ge_f32_e32 vcc_lo, v5, v2
	v_cndmask_b32_e32 v2, v2, v5, vcc_lo
	v_cmp_ge_f32_e32 vcc_lo, v4, v3
	v_cndmask_b32_e32 v3, v3, v4, vcc_lo
	v_cmp_gt_f32_e32 vcc_lo, v0, v1
	v_cndmask_b32_e32 v4, v0, v1, vcc_lo
	v_cmp_gt_f32_e32 vcc_lo, v1, v0
	;; [unrolled: 2-line block ×4, first 2 shown]
	v_cndmask_b32_e32 v2, v2, v3, vcc_lo
	v_add_co_u32 v24, vcc_lo, v24, 16
	v_add_co_ci_u32_e32 v25, vcc_lo, 0, v25, vcc_lo
	s_delay_alu instid0(VALU_DEP_3)
	v_cmp_gt_f32_e32 vcc_lo, v1, v2
	v_cndmask_b32_e32 v5, v1, v2, vcc_lo
	v_cmp_gt_f32_e32 vcc_lo, v0, v4
	v_cndmask_b32_e32 v6, v4, v0, vcc_lo
	;; [unrolled: 2-line block ×3, first 2 shown]
	v_cmp_gt_f32_e32 vcc_lo, v2, v1
	v_dual_mov_b32 v4, v8 :: v_dual_cndmask_b32 v3, v1, v2
	v_cmp_gt_f32_e32 vcc_lo, v5, v6
	v_cndmask_b32_e32 v1, v5, v6, vcc_lo
	v_cmp_gt_f32_e32 vcc_lo, v6, v5
	v_cndmask_b32_e32 v2, v5, v6, vcc_lo
	v_dual_mov_b32 v5, v9 :: v_dual_mov_b32 v6, v10
	s_and_not1_b32 exec_lo, exec_lo, s0
	s_cbranch_execz .LBB1_23
.LBB1_10:                               ; =>This Inner Loop Header: Depth=1
	v_ashrrev_i32_e32 v27, 31, v26
	s_waitcnt vmcnt(0)
	v_dual_mov_b32 v17, 0 :: v_dual_mov_b32 v18, 0
	v_mov_b32_e32 v19, 0
	s_mov_b32 s1, exec_lo
	v_lshlrev_b64 v[8:9], 4, v[26:27]
	v_dual_mov_b32 v16, 0 :: v_dual_add_nc_u32 v27, v29, v30
	s_delay_alu instid0(VALU_DEP_2) | instskip(NEXT) | instid1(VALU_DEP_3)
	v_add_co_u32 v8, vcc_lo, v22, v8
	v_add_co_ci_u32_e32 v9, vcc_lo, v23, v9, vcc_lo
	global_load_b128 v[12:15], v[8:9], off offset:16
	v_cmpx_gt_i32_e64 s6, v27
	s_cbranch_execz .LBB1_12
; %bb.11:                               ;   in Loop: Header=BB1_10 Depth=1
	v_ashrrev_i32_e32 v28, 31, v27
	s_delay_alu instid0(VALU_DEP_1) | instskip(NEXT) | instid1(VALU_DEP_1)
	v_lshlrev_b64 v[8:9], 4, v[27:28]
	v_add_co_u32 v8, vcc_lo, s8, v8
	s_delay_alu instid0(VALU_DEP_2)
	v_add_co_ci_u32_e32 v9, vcc_lo, s9, v9, vcc_lo
	global_load_b128 v[16:19], v[8:9], off
.LBB1_12:                               ;   in Loop: Header=BB1_10 Depth=1
	s_or_b32 exec_lo, exec_lo, s1
	s_waitcnt vmcnt(1)
	v_cmp_lt_f32_e32 vcc_lo, v4, v3
	s_mov_b32 s4, 0
	s_mov_b32 s1, exec_lo
	v_cndmask_b32_e32 v8, v3, v4, vcc_lo
	v_cmp_lt_f32_e32 vcc_lo, v5, v2
	v_cndmask_b32_e32 v9, v2, v5, vcc_lo
	v_cmp_lt_f32_e32 vcc_lo, v6, v1
	;; [unrolled: 2-line block ×3, first 2 shown]
	v_cndmask_b32_e32 v11, v0, v7, vcc_lo
	v_cmp_gt_f32_e32 vcc_lo, v8, v9
	v_cndmask_b32_e32 v28, v8, v9, vcc_lo
	v_cmp_gt_f32_e32 vcc_lo, v9, v8
	;; [unrolled: 2-line block ×4, first 2 shown]
	v_cndmask_b32_e32 v8, v10, v11, vcc_lo
	s_delay_alu instid0(VALU_DEP_3) | instskip(SKIP_1) | instid1(VALU_DEP_3)
	v_cmp_gt_f32_e32 vcc_lo, v9, v31
	v_cndmask_b32_e32 v10, v9, v31, vcc_lo
	v_cmp_gt_f32_e32 vcc_lo, v8, v28
	v_cndmask_b32_e32 v32, v28, v8, vcc_lo
	v_cmp_gt_f32_e32 vcc_lo, v28, v8
	v_cndmask_b32_e32 v8, v28, v8, vcc_lo
	v_cmp_gt_f32_e32 vcc_lo, v31, v9
	v_cndmask_b32_e32 v11, v9, v31, vcc_lo
	v_cmp_gt_f32_e32 vcc_lo, v10, v32
	v_dual_cndmask_b32 v9, v10, v32 :: v_dual_add_nc_u32 v28, 1, v30
	v_cmp_gt_f32_e32 vcc_lo, v32, v10
	v_cndmask_b32_e32 v10, v10, v32, vcc_lo
	global_store_b128 v[24:25], v[8:11], off offset:16
	v_cmpx_gt_i32_e64 s2, v28
	s_cbranch_execz .LBB1_14
; %bb.13:                               ;   in Loop: Header=BB1_10 Depth=1
	global_load_b32 v31, v[20:21], off offset:4
	s_waitcnt vmcnt(0)
	v_cmp_lt_i32_e32 vcc_lo, v27, v31
	s_and_b32 s4, vcc_lo, exec_lo
.LBB1_14:                               ;   in Loop: Header=BB1_10 Depth=1
	s_or_b32 exec_lo, exec_lo, s1
	v_add_nc_u32_e32 v27, 1, v26
	s_mov_b32 s3, exec_lo
                                        ; implicit-def: $sgpr1
	s_delay_alu instid0(VALU_DEP_1)
	v_cmpx_le_i32_e64 s2, v27
	s_xor_b32 s3, exec_lo, s3
	s_cbranch_execz .LBB1_18
; %bb.15:                               ;   in Loop: Header=BB1_10 Depth=1
	s_mov_b32 s1, 0
	s_and_saveexec_b32 s5, s4
	s_cbranch_execz .LBB1_17
; %bb.16:                               ;   in Loop: Header=BB1_10 Depth=1
	s_waitcnt vmcnt(0)
	v_dual_mov_b32 v11, v19 :: v_dual_mov_b32 v10, v18
	v_dual_mov_b32 v9, v17 :: v_dual_mov_b32 v8, v16
	v_mov_b32_e32 v30, v28
	s_mov_b32 s1, exec_lo
.LBB1_17:                               ;   in Loop: Header=BB1_10 Depth=1
	s_or_b32 exec_lo, exec_lo, s5
	s_delay_alu instid0(SALU_CYCLE_1)
	s_and_b32 s1, s1, exec_lo
                                        ; implicit-def: $vgpr12_vgpr13_vgpr14_vgpr15
                                        ; implicit-def: $vgpr16
                                        ; implicit-def: $vgpr28
                                        ; implicit-def: $vgpr27
.LBB1_18:                               ;   in Loop: Header=BB1_10 Depth=1
	s_and_not1_saveexec_b32 s3, s3
	s_cbranch_execz .LBB1_9
; %bb.19:                               ;   in Loop: Header=BB1_10 Depth=1
	s_xor_b32 s5, s4, -1
                                        ; implicit-def: $vgpr11
                                        ; implicit-def: $sgpr4
	s_delay_alu instid0(SALU_CYCLE_1) | instskip(NEXT) | instid1(SALU_CYCLE_1)
	s_and_saveexec_b32 s7, s5
	s_xor_b32 s5, exec_lo, s7
	s_cbranch_execz .LBB1_21
; %bb.20:                               ;   in Loop: Header=BB1_10 Depth=1
	s_waitcnt vmcnt(0)
	v_dual_mov_b32 v11, v15 :: v_dual_mov_b32 v10, v14
	v_mov_b32_e32 v9, v13
	s_mov_b32 s4, -1
                                        ; implicit-def: $vgpr26
                                        ; implicit-def: $vgpr16
                                        ; implicit-def: $vgpr28
.LBB1_21:                               ;   in Loop: Header=BB1_10 Depth=1
	s_and_not1_saveexec_b32 s5, s5
	s_cbranch_execz .LBB1_8
; %bb.22:                               ;   in Loop: Header=BB1_10 Depth=1
	s_waitcnt vmcnt(0)
	v_cmp_lt_f32_e32 vcc_lo, v12, v16
	s_or_b32 s4, s4, exec_lo
	v_dual_cndmask_b32 v12, v16, v12 :: v_dual_cndmask_b32 v9, v17, v13
	v_dual_cndmask_b32 v10, v18, v14 :: v_dual_cndmask_b32 v11, v19, v15
	;; [unrolled: 1-line block ×3, first 2 shown]
	s_branch .LBB1_8
.LBB1_23:
	s_or_b32 exec_lo, exec_lo, s0
	global_store_b128 v[24:25], v[0:3], off offset:16
.LBB1_24:
	s_nop 0
	s_sendmsg sendmsg(MSG_DEALLOC_VGPRS)
	s_endpgm
	.section	.rodata,"a",@progbits
	.p2align	6, 0x0
	.amdhsa_kernel _Z13mergeSortPassPK15HIP_vector_typeIfLj4EEPS0_PKiiii
		.amdhsa_group_segment_fixed_size 0
		.amdhsa_private_segment_fixed_size 0
		.amdhsa_kernarg_size 296
		.amdhsa_user_sgpr_count 15
		.amdhsa_user_sgpr_dispatch_ptr 0
		.amdhsa_user_sgpr_queue_ptr 0
		.amdhsa_user_sgpr_kernarg_segment_ptr 1
		.amdhsa_user_sgpr_dispatch_id 0
		.amdhsa_user_sgpr_private_segment_size 0
		.amdhsa_wavefront_size32 1
		.amdhsa_uses_dynamic_stack 0
		.amdhsa_enable_private_segment 0
		.amdhsa_system_sgpr_workgroup_id_x 1
		.amdhsa_system_sgpr_workgroup_id_y 0
		.amdhsa_system_sgpr_workgroup_id_z 0
		.amdhsa_system_sgpr_workgroup_info 0
		.amdhsa_system_vgpr_workitem_id 0
		.amdhsa_next_free_vgpr 33
		.amdhsa_next_free_sgpr 16
		.amdhsa_reserve_vcc 1
		.amdhsa_float_round_mode_32 0
		.amdhsa_float_round_mode_16_64 0
		.amdhsa_float_denorm_mode_32 3
		.amdhsa_float_denorm_mode_16_64 3
		.amdhsa_dx10_clamp 1
		.amdhsa_ieee_mode 1
		.amdhsa_fp16_overflow 0
		.amdhsa_workgroup_processor_mode 1
		.amdhsa_memory_ordered 1
		.amdhsa_forward_progress 0
		.amdhsa_shared_vgpr_count 0
		.amdhsa_exception_fp_ieee_invalid_op 0
		.amdhsa_exception_fp_denorm_src 0
		.amdhsa_exception_fp_ieee_div_zero 0
		.amdhsa_exception_fp_ieee_overflow 0
		.amdhsa_exception_fp_ieee_underflow 0
		.amdhsa_exception_fp_ieee_inexact 0
		.amdhsa_exception_int_div_zero 0
	.end_amdhsa_kernel
	.text
.Lfunc_end1:
	.size	_Z13mergeSortPassPK15HIP_vector_typeIfLj4EEPS0_PKiiii, .Lfunc_end1-_Z13mergeSortPassPK15HIP_vector_typeIfLj4EEPS0_PKiiii
                                        ; -- End function
	.section	.AMDGPU.csdata,"",@progbits
; Kernel info:
; codeLenInByte = 1344
; NumSgprs: 18
; NumVgprs: 33
; ScratchSize: 0
; MemoryBound: 0
; FloatMode: 240
; IeeeMode: 1
; LDSByteSize: 0 bytes/workgroup (compile time only)
; SGPRBlocks: 2
; VGPRBlocks: 4
; NumSGPRsForWavesPerEU: 18
; NumVGPRsForWavesPerEU: 33
; Occupancy: 16
; WaveLimiterHint : 1
; COMPUTE_PGM_RSRC2:SCRATCH_EN: 0
; COMPUTE_PGM_RSRC2:USER_SGPR: 15
; COMPUTE_PGM_RSRC2:TRAP_HANDLER: 0
; COMPUTE_PGM_RSRC2:TGID_X_EN: 1
; COMPUTE_PGM_RSRC2:TGID_Y_EN: 0
; COMPUTE_PGM_RSRC2:TGID_Z_EN: 0
; COMPUTE_PGM_RSRC2:TIDIG_COMP_CNT: 0
	.text
	.protected	_Z9mergepackPfPKfPKiPKjS5_ ; -- Begin function _Z9mergepackPfPKfPKiPKjS5_
	.globl	_Z9mergepackPfPKfPKiPKjS5_
	.p2align	8
	.type	_Z9mergepackPfPKfPKiPKjS5_,@function
_Z9mergepackPfPKfPKiPKjS5_:             ; @_Z9mergepackPfPKfPKiPKjS5_
; %bb.0:
	s_clause 0x1
	s_load_b32 s12, s[0:1], 0x34
	s_load_b256 s[4:11], s[0:1], 0x0
	s_mov_b32 s2, s15
	s_ashr_i32 s3, s15, 31
	s_delay_alu instid0(SALU_CYCLE_1)
	s_lshl_b64 s[2:3], s[2:3], 2
	s_waitcnt lgkmcnt(0)
	s_and_b32 s12, s12, 0xffff
	s_add_u32 s10, s10, s2
	s_addc_u32 s11, s11, s3
	v_mad_u64_u32 v[1:2], null, s14, s12, v[0:1]
	s_load_b64 s[10:11], s[10:11], 0x0
	s_waitcnt lgkmcnt(0)
	s_delay_alu instid0(VALU_DEP_1) | instskip(SKIP_1) | instid1(VALU_DEP_1)
	v_add_nc_u32_e32 v0, s10, v1
	s_mov_b32 s10, exec_lo
	v_cmpx_gt_u32_e64 s11, v0
	s_cbranch_execz .LBB2_2
; %bb.1:
	s_add_u32 s8, s8, s2
	s_addc_u32 s9, s9, s3
	v_mov_b32_e32 v2, 0
	s_load_b32 s8, s[8:9], 0x0
	s_load_b64 s[0:1], s[0:1], 0x20
	s_waitcnt lgkmcnt(0)
	s_lshl_b32 s8, s8, 2
	s_add_u32 s0, s0, s2
	s_addc_u32 s1, s1, s3
	s_load_b32 s0, s[0:1], 0x0
	s_waitcnt lgkmcnt(0)
	v_add3_u32 v1, s8, s0, v1
	s_delay_alu instid0(VALU_DEP_1) | instskip(SKIP_1) | instid1(VALU_DEP_1)
	v_lshlrev_b64 v[3:4], 2, v[1:2]
	v_mov_b32_e32 v1, v2
	v_lshlrev_b64 v[0:1], 2, v[0:1]
	s_delay_alu instid0(VALU_DEP_3) | instskip(NEXT) | instid1(VALU_DEP_4)
	v_add_co_u32 v3, vcc_lo, s6, v3
	v_add_co_ci_u32_e32 v4, vcc_lo, s7, v4, vcc_lo
	s_delay_alu instid0(VALU_DEP_3)
	v_add_co_u32 v0, vcc_lo, s4, v0
	global_load_b32 v3, v[3:4], off
	v_add_co_ci_u32_e32 v1, vcc_lo, s5, v1, vcc_lo
	s_waitcnt vmcnt(0)
	global_store_b32 v[0:1], v3, off
.LBB2_2:
	s_nop 0
	s_sendmsg sendmsg(MSG_DEALLOC_VGPRS)
	s_endpgm
	.section	.rodata,"a",@progbits
	.p2align	6, 0x0
	.amdhsa_kernel _Z9mergepackPfPKfPKiPKjS5_
		.amdhsa_group_segment_fixed_size 0
		.amdhsa_private_segment_fixed_size 0
		.amdhsa_kernarg_size 296
		.amdhsa_user_sgpr_count 14
		.amdhsa_user_sgpr_dispatch_ptr 0
		.amdhsa_user_sgpr_queue_ptr 0
		.amdhsa_user_sgpr_kernarg_segment_ptr 1
		.amdhsa_user_sgpr_dispatch_id 0
		.amdhsa_user_sgpr_private_segment_size 0
		.amdhsa_wavefront_size32 1
		.amdhsa_uses_dynamic_stack 0
		.amdhsa_enable_private_segment 0
		.amdhsa_system_sgpr_workgroup_id_x 1
		.amdhsa_system_sgpr_workgroup_id_y 1
		.amdhsa_system_sgpr_workgroup_id_z 0
		.amdhsa_system_sgpr_workgroup_info 0
		.amdhsa_system_vgpr_workitem_id 0
		.amdhsa_next_free_vgpr 5
		.amdhsa_next_free_sgpr 16
		.amdhsa_reserve_vcc 1
		.amdhsa_float_round_mode_32 0
		.amdhsa_float_round_mode_16_64 0
		.amdhsa_float_denorm_mode_32 3
		.amdhsa_float_denorm_mode_16_64 3
		.amdhsa_dx10_clamp 1
		.amdhsa_ieee_mode 1
		.amdhsa_fp16_overflow 0
		.amdhsa_workgroup_processor_mode 1
		.amdhsa_memory_ordered 1
		.amdhsa_forward_progress 0
		.amdhsa_shared_vgpr_count 0
		.amdhsa_exception_fp_ieee_invalid_op 0
		.amdhsa_exception_fp_denorm_src 0
		.amdhsa_exception_fp_ieee_div_zero 0
		.amdhsa_exception_fp_ieee_overflow 0
		.amdhsa_exception_fp_ieee_underflow 0
		.amdhsa_exception_fp_ieee_inexact 0
		.amdhsa_exception_int_div_zero 0
	.end_amdhsa_kernel
	.text
.Lfunc_end2:
	.size	_Z9mergepackPfPKfPKiPKjS5_, .Lfunc_end2-_Z9mergepackPfPKfPKiPKjS5_
                                        ; -- End function
	.section	.AMDGPU.csdata,"",@progbits
; Kernel info:
; codeLenInByte = 252
; NumSgprs: 18
; NumVgprs: 5
; ScratchSize: 0
; MemoryBound: 0
; FloatMode: 240
; IeeeMode: 1
; LDSByteSize: 0 bytes/workgroup (compile time only)
; SGPRBlocks: 2
; VGPRBlocks: 0
; NumSGPRsForWavesPerEU: 18
; NumVGPRsForWavesPerEU: 5
; Occupancy: 16
; WaveLimiterHint : 1
; COMPUTE_PGM_RSRC2:SCRATCH_EN: 0
; COMPUTE_PGM_RSRC2:USER_SGPR: 14
; COMPUTE_PGM_RSRC2:TRAP_HANDLER: 0
; COMPUTE_PGM_RSRC2:TGID_X_EN: 1
; COMPUTE_PGM_RSRC2:TGID_Y_EN: 1
; COMPUTE_PGM_RSRC2:TGID_Z_EN: 0
; COMPUTE_PGM_RSRC2:TIDIG_COMP_CNT: 0
	.text
	.p2alignl 7, 3214868480
	.fill 96, 4, 3214868480
	.type	__hip_cuid_faff1bf2b65ca2ac,@object ; @__hip_cuid_faff1bf2b65ca2ac
	.section	.bss,"aw",@nobits
	.globl	__hip_cuid_faff1bf2b65ca2ac
__hip_cuid_faff1bf2b65ca2ac:
	.byte	0                               ; 0x0
	.size	__hip_cuid_faff1bf2b65ca2ac, 1

	.ident	"AMD clang version 19.0.0git (https://github.com/RadeonOpenCompute/llvm-project roc-6.4.0 25133 c7fe45cf4b819c5991fe208aaa96edf142730f1d)"
	.section	".note.GNU-stack","",@progbits
	.addrsig
	.addrsig_sym __hip_cuid_faff1bf2b65ca2ac
	.amdgpu_metadata
---
amdhsa.kernels:
  - .args:
      - .address_space:  global
        .offset:         0
        .size:           8
        .value_kind:     global_buffer
      - .address_space:  global
        .offset:         8
        .size:           8
        .value_kind:     global_buffer
      - .offset:         16
        .size:           4
        .value_kind:     by_value
      - .offset:         24
        .size:           4
        .value_kind:     hidden_block_count_x
      - .offset:         28
        .size:           4
        .value_kind:     hidden_block_count_y
      - .offset:         32
        .size:           4
        .value_kind:     hidden_block_count_z
      - .offset:         36
        .size:           2
        .value_kind:     hidden_group_size_x
      - .offset:         38
        .size:           2
        .value_kind:     hidden_group_size_y
      - .offset:         40
        .size:           2
        .value_kind:     hidden_group_size_z
      - .offset:         42
        .size:           2
        .value_kind:     hidden_remainder_x
      - .offset:         44
        .size:           2
        .value_kind:     hidden_remainder_y
      - .offset:         46
        .size:           2
        .value_kind:     hidden_remainder_z
      - .offset:         64
        .size:           8
        .value_kind:     hidden_global_offset_x
      - .offset:         72
        .size:           8
        .value_kind:     hidden_global_offset_y
      - .offset:         80
        .size:           8
        .value_kind:     hidden_global_offset_z
      - .offset:         88
        .size:           2
        .value_kind:     hidden_grid_dims
    .group_segment_fixed_size: 0
    .kernarg_segment_align: 8
    .kernarg_segment_size: 280
    .language:       OpenCL C
    .language_version:
      - 2
      - 0
    .max_flat_workgroup_size: 1024
    .name:           _Z11sortElementP15HIP_vector_typeIfLj4EES1_i
    .private_segment_fixed_size: 0
    .sgpr_count:     18
    .sgpr_spill_count: 0
    .symbol:         _Z11sortElementP15HIP_vector_typeIfLj4EES1_i.kd
    .uniform_work_group_size: 1
    .uses_dynamic_stack: false
    .vgpr_count:     9
    .vgpr_spill_count: 0
    .wavefront_size: 32
    .workgroup_processor_mode: 1
  - .args:
      - .address_space:  global
        .offset:         0
        .size:           8
        .value_kind:     global_buffer
      - .address_space:  global
        .offset:         8
        .size:           8
        .value_kind:     global_buffer
      - .address_space:  global
        .offset:         16
        .size:           8
        .value_kind:     global_buffer
      - .offset:         24
        .size:           4
        .value_kind:     by_value
      - .offset:         28
        .size:           4
        .value_kind:     by_value
      - .offset:         32
        .size:           4
        .value_kind:     by_value
      - .offset:         40
        .size:           4
        .value_kind:     hidden_block_count_x
      - .offset:         44
        .size:           4
        .value_kind:     hidden_block_count_y
      - .offset:         48
        .size:           4
        .value_kind:     hidden_block_count_z
      - .offset:         52
        .size:           2
        .value_kind:     hidden_group_size_x
      - .offset:         54
        .size:           2
        .value_kind:     hidden_group_size_y
      - .offset:         56
        .size:           2
        .value_kind:     hidden_group_size_z
      - .offset:         58
        .size:           2
        .value_kind:     hidden_remainder_x
      - .offset:         60
        .size:           2
        .value_kind:     hidden_remainder_y
      - .offset:         62
        .size:           2
        .value_kind:     hidden_remainder_z
      - .offset:         80
        .size:           8
        .value_kind:     hidden_global_offset_x
      - .offset:         88
        .size:           8
        .value_kind:     hidden_global_offset_y
      - .offset:         96
        .size:           8
        .value_kind:     hidden_global_offset_z
      - .offset:         104
        .size:           2
        .value_kind:     hidden_grid_dims
    .group_segment_fixed_size: 0
    .kernarg_segment_align: 8
    .kernarg_segment_size: 296
    .language:       OpenCL C
    .language_version:
      - 2
      - 0
    .max_flat_workgroup_size: 1024
    .name:           _Z13mergeSortPassPK15HIP_vector_typeIfLj4EEPS0_PKiiii
    .private_segment_fixed_size: 0
    .sgpr_count:     18
    .sgpr_spill_count: 0
    .symbol:         _Z13mergeSortPassPK15HIP_vector_typeIfLj4EEPS0_PKiiii.kd
    .uniform_work_group_size: 1
    .uses_dynamic_stack: false
    .vgpr_count:     33
    .vgpr_spill_count: 0
    .wavefront_size: 32
    .workgroup_processor_mode: 1
  - .args:
      - .address_space:  global
        .offset:         0
        .size:           8
        .value_kind:     global_buffer
      - .address_space:  global
        .offset:         8
        .size:           8
        .value_kind:     global_buffer
      - .address_space:  global
        .offset:         16
        .size:           8
        .value_kind:     global_buffer
      - .address_space:  global
        .offset:         24
        .size:           8
        .value_kind:     global_buffer
      - .address_space:  global
        .offset:         32
        .size:           8
        .value_kind:     global_buffer
      - .offset:         40
        .size:           4
        .value_kind:     hidden_block_count_x
      - .offset:         44
        .size:           4
        .value_kind:     hidden_block_count_y
      - .offset:         48
        .size:           4
        .value_kind:     hidden_block_count_z
      - .offset:         52
        .size:           2
        .value_kind:     hidden_group_size_x
      - .offset:         54
        .size:           2
        .value_kind:     hidden_group_size_y
      - .offset:         56
        .size:           2
        .value_kind:     hidden_group_size_z
      - .offset:         58
        .size:           2
        .value_kind:     hidden_remainder_x
      - .offset:         60
        .size:           2
        .value_kind:     hidden_remainder_y
      - .offset:         62
        .size:           2
        .value_kind:     hidden_remainder_z
      - .offset:         80
        .size:           8
        .value_kind:     hidden_global_offset_x
      - .offset:         88
        .size:           8
        .value_kind:     hidden_global_offset_y
      - .offset:         96
        .size:           8
        .value_kind:     hidden_global_offset_z
      - .offset:         104
        .size:           2
        .value_kind:     hidden_grid_dims
    .group_segment_fixed_size: 0
    .kernarg_segment_align: 8
    .kernarg_segment_size: 296
    .language:       OpenCL C
    .language_version:
      - 2
      - 0
    .max_flat_workgroup_size: 1024
    .name:           _Z9mergepackPfPKfPKiPKjS5_
    .private_segment_fixed_size: 0
    .sgpr_count:     18
    .sgpr_spill_count: 0
    .symbol:         _Z9mergepackPfPKfPKiPKjS5_.kd
    .uniform_work_group_size: 1
    .uses_dynamic_stack: false
    .vgpr_count:     5
    .vgpr_spill_count: 0
    .wavefront_size: 32
    .workgroup_processor_mode: 1
amdhsa.target:   amdgcn-amd-amdhsa--gfx1100
amdhsa.version:
  - 1
  - 2
...

	.end_amdgpu_metadata
